;; amdgpu-corpus repo=ROCm/rocFFT kind=compiled arch=gfx906 opt=O3
	.text
	.amdgcn_target "amdgcn-amd-amdhsa--gfx906"
	.amdhsa_code_object_version 6
	.protected	fft_rtc_fwd_len585_factors_13_5_9_wgs_195_tpt_65_half_op_CI_CI_unitstride_sbrr_dirReg ; -- Begin function fft_rtc_fwd_len585_factors_13_5_9_wgs_195_tpt_65_half_op_CI_CI_unitstride_sbrr_dirReg
	.globl	fft_rtc_fwd_len585_factors_13_5_9_wgs_195_tpt_65_half_op_CI_CI_unitstride_sbrr_dirReg
	.p2align	8
	.type	fft_rtc_fwd_len585_factors_13_5_9_wgs_195_tpt_65_half_op_CI_CI_unitstride_sbrr_dirReg,@function
fft_rtc_fwd_len585_factors_13_5_9_wgs_195_tpt_65_half_op_CI_CI_unitstride_sbrr_dirReg: ; @fft_rtc_fwd_len585_factors_13_5_9_wgs_195_tpt_65_half_op_CI_CI_unitstride_sbrr_dirReg
; %bb.0:
	v_mul_u32_u24_e32 v1, 0x3f1, v0
	s_load_dwordx4 s[8:11], s[4:5], 0x58
	s_load_dwordx4 s[12:15], s[4:5], 0x0
	;; [unrolled: 1-line block ×3, first 2 shown]
	v_lshrrev_b32_e32 v1, 16, v1
	v_mad_u64_u32 v[8:9], s[0:1], s6, 3, v[1:2]
	v_mov_b32_e32 v3, 0
	s_waitcnt lgkmcnt(0)
	v_cmp_lt_u64_e64 s[0:1], s[14:15], 2
	v_mov_b32_e32 v10, 0
	v_mov_b32_e32 v9, v3
	;; [unrolled: 1-line block ×5, first 2 shown]
	s_and_b64 vcc, exec, s[0:1]
	v_mov_b32_e32 v2, v11
	v_mov_b32_e32 v5, v9
	s_cbranch_vccnz .LBB0_8
; %bb.1:
	s_load_dwordx2 s[0:1], s[4:5], 0x10
	s_add_u32 s2, s18, 8
	s_addc_u32 s3, s19, 0
	s_add_u32 s6, s16, 8
	s_addc_u32 s7, s17, 0
	v_mov_b32_e32 v10, 0
	s_waitcnt lgkmcnt(0)
	s_add_u32 s20, s0, 8
	v_mov_b32_e32 v11, 0
	v_mov_b32_e32 v1, v10
	;; [unrolled: 1-line block ×3, first 2 shown]
	s_addc_u32 s21, s1, 0
	s_mov_b64 s[22:23], 1
	v_mov_b32_e32 v2, v11
	v_mov_b32_e32 v7, v9
.LBB0_2:                                ; =>This Inner Loop Header: Depth=1
	s_load_dwordx2 s[24:25], s[20:21], 0x0
	s_waitcnt lgkmcnt(0)
	v_or_b32_e32 v4, s25, v7
	v_cmp_ne_u64_e32 vcc, 0, v[3:4]
                                        ; implicit-def: $vgpr4_vgpr5
	s_and_saveexec_b64 s[0:1], vcc
	s_xor_b64 s[26:27], exec, s[0:1]
	s_cbranch_execz .LBB0_4
; %bb.3:                                ;   in Loop: Header=BB0_2 Depth=1
	v_cvt_f32_u32_e32 v4, s24
	v_cvt_f32_u32_e32 v5, s25
	s_sub_u32 s0, 0, s24
	s_subb_u32 s1, 0, s25
	v_mac_f32_e32 v4, 0x4f800000, v5
	v_rcp_f32_e32 v4, v4
	v_mul_f32_e32 v4, 0x5f7ffffc, v4
	v_mul_f32_e32 v5, 0x2f800000, v4
	v_trunc_f32_e32 v5, v5
	v_mac_f32_e32 v4, 0xcf800000, v5
	v_cvt_u32_f32_e32 v5, v5
	v_cvt_u32_f32_e32 v4, v4
	v_mul_lo_u32 v9, s0, v5
	v_mul_hi_u32 v12, s0, v4
	v_mul_lo_u32 v14, s1, v4
	v_mul_lo_u32 v13, s0, v4
	v_add_u32_e32 v9, v12, v9
	v_add_u32_e32 v9, v9, v14
	v_mul_hi_u32 v12, v4, v13
	v_mul_lo_u32 v14, v4, v9
	v_mul_hi_u32 v16, v4, v9
	v_mul_hi_u32 v15, v5, v13
	v_mul_lo_u32 v13, v5, v13
	v_mul_hi_u32 v17, v5, v9
	v_add_co_u32_e32 v12, vcc, v12, v14
	v_addc_co_u32_e32 v14, vcc, 0, v16, vcc
	v_mul_lo_u32 v9, v5, v9
	v_add_co_u32_e32 v12, vcc, v12, v13
	v_addc_co_u32_e32 v12, vcc, v14, v15, vcc
	v_addc_co_u32_e32 v13, vcc, 0, v17, vcc
	v_add_co_u32_e32 v9, vcc, v12, v9
	v_addc_co_u32_e32 v12, vcc, 0, v13, vcc
	v_add_co_u32_e32 v4, vcc, v4, v9
	v_addc_co_u32_e32 v5, vcc, v5, v12, vcc
	v_mul_lo_u32 v9, s0, v5
	v_mul_hi_u32 v12, s0, v4
	v_mul_lo_u32 v13, s1, v4
	v_mul_lo_u32 v14, s0, v4
	v_add_u32_e32 v9, v12, v9
	v_add_u32_e32 v9, v9, v13
	v_mul_lo_u32 v15, v4, v9
	v_mul_hi_u32 v16, v4, v14
	v_mul_hi_u32 v17, v4, v9
	;; [unrolled: 1-line block ×3, first 2 shown]
	v_mul_lo_u32 v14, v5, v14
	v_mul_hi_u32 v12, v5, v9
	v_add_co_u32_e32 v15, vcc, v16, v15
	v_addc_co_u32_e32 v16, vcc, 0, v17, vcc
	v_mul_lo_u32 v9, v5, v9
	v_add_co_u32_e32 v14, vcc, v15, v14
	v_addc_co_u32_e32 v13, vcc, v16, v13, vcc
	v_addc_co_u32_e32 v12, vcc, 0, v12, vcc
	v_add_co_u32_e32 v9, vcc, v13, v9
	v_addc_co_u32_e32 v12, vcc, 0, v12, vcc
	v_add_co_u32_e32 v9, vcc, v4, v9
	v_addc_co_u32_e32 v12, vcc, v5, v12, vcc
	v_mad_u64_u32 v[4:5], s[0:1], v6, v12, 0
	v_mul_hi_u32 v13, v6, v9
	v_add_co_u32_e32 v14, vcc, v13, v4
	v_addc_co_u32_e32 v15, vcc, 0, v5, vcc
	v_mad_u64_u32 v[4:5], s[0:1], v7, v9, 0
	v_mad_u64_u32 v[12:13], s[0:1], v7, v12, 0
	v_add_co_u32_e32 v4, vcc, v14, v4
	v_addc_co_u32_e32 v4, vcc, v15, v5, vcc
	v_addc_co_u32_e32 v5, vcc, 0, v13, vcc
	v_add_co_u32_e32 v9, vcc, v4, v12
	v_addc_co_u32_e32 v12, vcc, 0, v5, vcc
	v_mul_lo_u32 v13, s25, v9
	v_mul_lo_u32 v14, s24, v12
	v_mad_u64_u32 v[4:5], s[0:1], s24, v9, 0
	v_add3_u32 v5, v5, v14, v13
	v_sub_u32_e32 v13, v7, v5
	v_mov_b32_e32 v14, s25
	v_sub_co_u32_e32 v4, vcc, v6, v4
	v_subb_co_u32_e64 v13, s[0:1], v13, v14, vcc
	v_subrev_co_u32_e64 v14, s[0:1], s24, v4
	v_subbrev_co_u32_e64 v13, s[0:1], 0, v13, s[0:1]
	v_cmp_le_u32_e64 s[0:1], s25, v13
	v_cndmask_b32_e64 v15, 0, -1, s[0:1]
	v_cmp_le_u32_e64 s[0:1], s24, v14
	v_cndmask_b32_e64 v14, 0, -1, s[0:1]
	v_cmp_eq_u32_e64 s[0:1], s25, v13
	v_cndmask_b32_e64 v13, v15, v14, s[0:1]
	v_add_co_u32_e64 v14, s[0:1], 2, v9
	v_addc_co_u32_e64 v15, s[0:1], 0, v12, s[0:1]
	v_add_co_u32_e64 v16, s[0:1], 1, v9
	v_addc_co_u32_e64 v17, s[0:1], 0, v12, s[0:1]
	v_subb_co_u32_e32 v5, vcc, v7, v5, vcc
	v_cmp_ne_u32_e64 s[0:1], 0, v13
	v_cmp_le_u32_e32 vcc, s25, v5
	v_cndmask_b32_e64 v13, v17, v15, s[0:1]
	v_cndmask_b32_e64 v15, 0, -1, vcc
	v_cmp_le_u32_e32 vcc, s24, v4
	v_cndmask_b32_e64 v4, 0, -1, vcc
	v_cmp_eq_u32_e32 vcc, s25, v5
	v_cndmask_b32_e32 v4, v15, v4, vcc
	v_cmp_ne_u32_e32 vcc, 0, v4
	v_cndmask_b32_e64 v4, v16, v14, s[0:1]
	v_cndmask_b32_e32 v5, v12, v13, vcc
	v_cndmask_b32_e32 v4, v9, v4, vcc
.LBB0_4:                                ;   in Loop: Header=BB0_2 Depth=1
	s_andn2_saveexec_b64 s[0:1], s[26:27]
	s_cbranch_execz .LBB0_6
; %bb.5:                                ;   in Loop: Header=BB0_2 Depth=1
	v_cvt_f32_u32_e32 v4, s24
	s_sub_i32 s26, 0, s24
	v_rcp_iflag_f32_e32 v4, v4
	v_mul_f32_e32 v4, 0x4f7ffffe, v4
	v_cvt_u32_f32_e32 v4, v4
	v_mul_lo_u32 v5, s26, v4
	v_mul_hi_u32 v5, v4, v5
	v_add_u32_e32 v4, v4, v5
	v_mul_hi_u32 v4, v6, v4
	v_mul_lo_u32 v5, v4, s24
	v_add_u32_e32 v9, 1, v4
	v_sub_u32_e32 v5, v6, v5
	v_subrev_u32_e32 v12, s24, v5
	v_cmp_le_u32_e32 vcc, s24, v5
	v_cndmask_b32_e32 v5, v5, v12, vcc
	v_cndmask_b32_e32 v4, v4, v9, vcc
	v_add_u32_e32 v9, 1, v4
	v_cmp_le_u32_e32 vcc, s24, v5
	v_cndmask_b32_e32 v4, v4, v9, vcc
	v_mov_b32_e32 v5, v3
.LBB0_6:                                ;   in Loop: Header=BB0_2 Depth=1
	s_or_b64 exec, exec, s[0:1]
	v_mul_lo_u32 v9, v5, s24
	v_mul_lo_u32 v14, v4, s25
	v_mad_u64_u32 v[12:13], s[0:1], v4, s24, 0
	s_load_dwordx2 s[0:1], s[6:7], 0x0
	s_load_dwordx2 s[24:25], s[2:3], 0x0
	v_add3_u32 v9, v13, v14, v9
	v_sub_co_u32_e32 v6, vcc, v6, v12
	v_subb_co_u32_e32 v7, vcc, v7, v9, vcc
	s_waitcnt lgkmcnt(0)
	v_mul_lo_u32 v9, s0, v7
	v_mul_lo_u32 v12, s1, v6
	v_mad_u64_u32 v[10:11], s[0:1], s0, v6, v[10:11]
	v_mul_lo_u32 v7, s24, v7
	v_mul_lo_u32 v13, s25, v6
	v_mad_u64_u32 v[1:2], s[0:1], s24, v6, v[1:2]
	s_add_u32 s22, s22, 1
	s_addc_u32 s23, s23, 0
	s_add_u32 s2, s2, 8
	v_add3_u32 v2, v13, v2, v7
	s_addc_u32 s3, s3, 0
	v_mov_b32_e32 v6, s14
	s_add_u32 s6, s6, 8
	v_mov_b32_e32 v7, s15
	s_addc_u32 s7, s7, 0
	v_cmp_ge_u64_e32 vcc, s[22:23], v[6:7]
	s_add_u32 s20, s20, 8
	v_add3_u32 v11, v12, v11, v9
	s_addc_u32 s21, s21, 0
	s_cbranch_vccnz .LBB0_8
; %bb.7:                                ;   in Loop: Header=BB0_2 Depth=1
	v_mov_b32_e32 v7, v5
	v_mov_b32_e32 v6, v4
	s_branch .LBB0_2
.LBB0_8:
	s_lshl_b64 s[14:15], s[14:15], 3
	s_load_dwordx2 s[0:1], s[4:5], 0x28
	s_add_u32 s2, s18, s14
	s_mov_b32 s3, 0x3f03f04
	v_mul_hi_u32 v3, v0, s3
	s_addc_u32 s3, s19, s15
	s_load_dwordx2 s[2:3], s[2:3], 0x0
	s_waitcnt lgkmcnt(0)
	v_cmp_gt_u64_e32 vcc, s[0:1], v[4:5]
	v_mul_u32_u24_e32 v3, 0x41, v3
	v_sub_u32_e32 v6, v0, v3
	v_mov_b32_e32 v3, 0
	v_mov_b32_e32 v7, 0
                                        ; implicit-def: $vgpr9
                                        ; implicit-def: $vgpr12
                                        ; implicit-def: $vgpr13
                                        ; implicit-def: $vgpr14
                                        ; implicit-def: $vgpr20
                                        ; implicit-def: $vgpr21
                                        ; implicit-def: $vgpr22
                                        ; implicit-def: $vgpr23
                                        ; implicit-def: $vgpr24
                                        ; implicit-def: $vgpr25
                                        ; implicit-def: $vgpr26
                                        ; implicit-def: $vgpr27
	s_and_saveexec_b64 s[4:5], vcc
	s_cbranch_execz .LBB0_12
; %bb.9:
	v_cmp_gt_u32_e64 s[0:1], 45, v6
	v_mov_b32_e32 v7, 0
                                        ; implicit-def: $vgpr27
                                        ; implicit-def: $vgpr26
                                        ; implicit-def: $vgpr25
                                        ; implicit-def: $vgpr24
                                        ; implicit-def: $vgpr23
                                        ; implicit-def: $vgpr22
                                        ; implicit-def: $vgpr21
                                        ; implicit-def: $vgpr20
                                        ; implicit-def: $vgpr14
                                        ; implicit-def: $vgpr13
                                        ; implicit-def: $vgpr12
                                        ; implicit-def: $vgpr9
	s_and_saveexec_b64 s[6:7], s[0:1]
	s_cbranch_execz .LBB0_11
; %bb.10:
	s_add_u32 s0, s16, s14
	s_addc_u32 s1, s17, s15
	s_load_dwordx2 s[0:1], s[0:1], 0x0
	v_mov_b32_e32 v9, s9
	v_mov_b32_e32 v7, 0
	s_waitcnt lgkmcnt(0)
	v_mul_lo_u32 v0, s1, v4
	v_mul_lo_u32 v3, s0, v5
	v_mad_u64_u32 v[12:13], s[0:1], s0, v4, 0
	v_add3_u32 v13, v13, v3, v0
	v_lshlrev_b64 v[12:13], 2, v[12:13]
	v_add_co_u32_e64 v0, s[0:1], s8, v12
	v_addc_co_u32_e64 v3, s[0:1], v9, v13, s[0:1]
	v_lshlrev_b64 v[9:10], 2, v[10:11]
	v_add_co_u32_e64 v0, s[0:1], v0, v9
	v_addc_co_u32_e64 v3, s[0:1], v3, v10, s[0:1]
	;; [unrolled: 3-line block ×3, first 2 shown]
	global_load_dword v7, v[15:16], off
	global_load_dword v20, v[15:16], off offset:180
	global_load_dword v22, v[15:16], off offset:360
	;; [unrolled: 1-line block ×12, first 2 shown]
.LBB0_11:
	s_or_b64 exec, exec, s[6:7]
	v_mov_b32_e32 v3, v6
.LBB0_12:
	s_or_b64 exec, exec, s[4:5]
	s_mov_b32 s0, 0xaaaaaaab
	v_mul_hi_u32 v0, v8, s0
	s_waitcnt vmcnt(0)
	v_pk_add_f16 v28, v20, v21 neg_lo:[0,1] neg_hi:[0,1]
	s_mov_b32 s1, 0xb94ebb7b
	v_pk_add_f16 v11, v20, v21
	v_lshrrev_b32_e32 v0, 1, v0
	v_lshl_add_u32 v0, v0, 1, v0
	s_mov_b32 s0, 0xb5acb9fd
	v_sub_u32_e32 v8, v8, v0
	v_pk_mul_f16 v0, v28, s1
	s_mov_b32 s4, 0x3bf1394e
	v_pk_add_f16 v32, v22, v23 neg_lo:[0,1] neg_hi:[0,1]
	v_pk_fma_f16 v10, v11, s0, v0 op_sel:[0,0,1] op_sel_hi:[1,1,0] neg_lo:[0,0,1] neg_hi:[0,0,1]
	s_mov_b32 s1, 0xb9fd2fb7
	v_pk_add_f16 v29, v22, v23
	v_pk_mul_f16 v15, v32, s4
	v_pk_fma_f16 v0, v11, s0, v0 op_sel:[0,0,1] op_sel_hi:[1,1,0]
	v_pk_fma_f16 v16, v29, s1, v15 op_sel:[0,0,1] op_sel_hi:[1,1,0] neg_lo:[0,0,1] neg_hi:[0,0,1]
	v_pk_add_f16 v0, v7, v0
	v_pk_fma_f16 v15, v29, s1, v15 op_sel:[0,0,1] op_sel_hi:[1,1,0]
	s_mov_b32 s1, 0xba953770
	v_pk_add_f16 v35, v24, v25 neg_lo:[0,1] neg_hi:[0,1]
	v_pk_add_f16 v10, v7, v10
	v_pk_add_f16 v0, v0, v15
	s_mov_b32 s0, 0x3b15388b
	v_pk_add_f16 v30, v24, v25
	v_pk_mul_f16 v15, v35, s1
	v_pk_add_f16 v10, v10, v16
	v_pk_fma_f16 v16, v30, s0, v15 op_sel:[0,0,1] op_sel_hi:[1,1,0] neg_lo:[0,0,1] neg_hi:[0,0,1]
	v_pk_fma_f16 v15, v30, s0, v15 op_sel:[0,0,1] op_sel_hi:[1,1,0]
	s_mov_b32 s1, 0x33a8bbf1
	v_pk_add_f16 v36, v26, v27 neg_lo:[0,1] neg_hi:[0,1]
	v_pk_add_f16 v0, v0, v15
	s_mov_b32 s0, 0x2fb7bbc4
	v_pk_add_f16 v31, v26, v27
	v_pk_mul_f16 v15, v36, s1
	v_pk_add_f16 v10, v10, v16
	v_pk_fma_f16 v16, v31, s0, v15 op_sel:[0,0,1] op_sel_hi:[1,1,0] neg_lo:[0,0,1] neg_hi:[0,0,1]
	v_pk_fma_f16 v15, v31, s0, v15 op_sel:[0,0,1] op_sel_hi:[1,1,0]
	s_mov_b32 s1, 0x377033a8
	v_pk_add_f16 v37, v13, v14 neg_lo:[0,1] neg_hi:[0,1]
	v_pk_add_f16 v0, v0, v15
	s_mov_b32 s0, 0xbbc43b15
	v_pk_add_f16 v33, v13, v14
	v_pk_mul_f16 v15, v37, s1
	s_mov_b32 s1, 0xbb7b3a95
	v_pk_add_f16 v38, v9, v12 neg_lo:[0,1] neg_hi:[0,1]
	v_pk_add_f16 v10, v10, v16
	v_pk_fma_f16 v16, v33, s0, v15 op_sel:[0,0,1] op_sel_hi:[1,1,0] neg_lo:[0,0,1] neg_hi:[0,0,1]
	v_pk_fma_f16 v15, v33, s0, v15 op_sel:[0,0,1] op_sel_hi:[1,1,0]
	s_mov_b32 s0, 0x388bb5ac
	v_pk_add_f16 v34, v9, v12
	v_pk_mul_f16 v19, v38, s1
	v_pk_add_f16 v10, v16, v10
	v_pk_add_f16 v18, v15, v0
	v_pk_fma_f16 v0, v34, s0, v19 op_sel:[0,0,1] op_sel_hi:[1,1,0] neg_lo:[0,0,1] neg_hi:[0,0,1]
	s_mov_b32 s1, 0xb9fdb5ac
	v_pk_add_f16 v0, v0, v10
	s_mov_b32 s4, 0xbb7bb94e
	v_pk_mul_f16 v10, v11, s1
	s_mov_b32 s1, 0x2fb7b9fd
	v_pk_fma_f16 v15, v28, s4, v10 op_sel:[0,0,1] op_sel_hi:[1,1,0]
	v_pk_fma_f16 v39, v28, s4, v10 op_sel:[0,0,1] op_sel_hi:[1,1,0] neg_lo:[1,0,0] neg_hi:[1,0,0]
	s_mov_b32 s6, 0xffff
	s_mov_b32 s4, 0x394e3bf1
	v_pk_mul_f16 v16, v29, s1
	v_bfi_b32 v10, s6, v39, v15
	v_pk_fma_f16 v17, v32, s4, v16 op_sel:[0,0,1] op_sel_hi:[1,1,0]
	v_pk_fma_f16 v40, v32, s4, v16 op_sel:[0,0,1] op_sel_hi:[1,1,0] neg_lo:[1,0,0] neg_hi:[1,0,0]
	v_pk_add_f16 v10, v7, v10 op_sel:[1,0] op_sel_hi:[0,1]
	v_bfi_b32 v16, s6, v40, v17
	s_mov_b32 s1, 0x388b3b15
	v_pk_add_f16 v10, v10, v16
	s_mov_b32 s4, 0x3770ba95
	v_pk_mul_f16 v16, v30, s1
	v_pk_fma_f16 v44, v35, s4, v16 op_sel:[0,0,1] op_sel_hi:[1,1,0]
	v_pk_fma_f16 v41, v35, s4, v16 op_sel:[0,0,1] op_sel_hi:[1,1,0] neg_lo:[1,0,0] neg_hi:[1,0,0]
	v_bfi_b32 v16, s6, v41, v44
	s_mov_b32 s1, 0xbbc42fb7
	v_pk_add_f16 v10, v10, v16
	s_mov_b32 s4, 0xbbf133a8
	v_pk_mul_f16 v16, v31, s1
	v_pk_fma_f16 v45, v36, s4, v16 op_sel:[0,0,1] op_sel_hi:[1,1,0]
	v_pk_fma_f16 v42, v36, s4, v16 op_sel:[0,0,1] op_sel_hi:[1,1,0] neg_lo:[1,0,0] neg_hi:[1,0,0]
	v_bfi_b32 v16, s6, v42, v45
	s_mov_b32 s1, 0x3b15bbc4
	v_pk_add_f16 v10, v10, v16
	s_mov_b32 s4, 0x33a83770
	v_pk_mul_f16 v16, v33, s1
	v_add_f16_sdwa v15, v7, v15 dst_sel:DWORD dst_unused:UNUSED_PAD src0_sel:WORD_1 src1_sel:DWORD
	v_pk_fma_f16 v46, v37, s4, v16 op_sel:[0,0,1] op_sel_hi:[1,1,0]
	v_pk_fma_f16 v43, v37, s4, v16 op_sel:[0,0,1] op_sel_hi:[1,1,0] neg_lo:[1,0,0] neg_hi:[1,0,0]
	v_add_f16_e32 v15, v15, v17
	v_bfi_b32 v16, s6, v43, v46
	v_add_f16_e32 v15, v15, v44
	s_mov_b32 s1, 0xb5ac388b
	v_pk_add_f16 v10, v16, v10
	v_add_f16_e32 v15, v15, v45
	s_mov_b32 s4, 0x3a95bb7b
	v_pk_mul_f16 v16, v34, s1
	v_add_f16_e32 v15, v46, v15
	v_pk_fma_f16 v44, v38, s4, v16 op_sel:[0,0,1] op_sel_hi:[1,1,0] neg_lo:[1,0,0] neg_hi:[1,0,0]
	v_pk_fma_f16 v16, v38, s4, v16 op_sel:[0,0,1] op_sel_hi:[1,1,0]
	v_add_f16_e32 v15, v16, v15
	v_bfi_b32 v16, s6, v44, v16
	s_mov_b32 s8, 0xbbc4
	v_pk_add_f16 v16, v16, v10
	s_mov_b32 s7, 0xb3a8
	v_pk_mul_f16 v10, v11, s8 op_sel_hi:[1,0]
	s_movk_i32 s15, 0x3b15
	v_pk_fma_f16 v17, v28, s7, v10 op_sel:[0,0,1] op_sel_hi:[1,0,0]
	s_movk_i32 s16, 0x3770
	v_pk_mul_f16 v45, v29, s15 op_sel_hi:[1,0]
	v_pk_add_f16 v17, v7, v17 op_sel:[1,0] op_sel_hi:[0,1]
	v_pk_fma_f16 v46, v32, s16, v45 op_sel:[0,0,1] op_sel_hi:[1,0,0]
	s_mov_b32 s14, 0xb9fd
	v_pk_add_f16 v17, v17, v46
	s_mov_b32 s9, 0xb94e
	v_pk_mul_f16 v46, v30, s14 op_sel_hi:[1,0]
	v_pk_fma_f16 v47, v35, s9, v46 op_sel:[0,0,1] op_sel_hi:[1,0,0]
	s_movk_i32 s18, 0x388b
	v_pk_add_f16 v17, v17, v47
	s_movk_i32 s22, 0x3a95
	v_pk_mul_f16 v47, v31, s18 op_sel_hi:[1,0]
	v_pk_fma_f16 v48, v36, s22, v47 op_sel:[0,0,1] op_sel_hi:[1,0,0]
	s_mov_b32 s19, 0xb5ac
	v_pk_add_f16 v17, v17, v48
	s_mov_b32 s17, 0xbb7b
	v_pk_mul_f16 v48, v33, s19 op_sel_hi:[1,0]
	v_pk_fma_f16 v49, v37, s17, v48 op_sel:[0,0,1] op_sel_hi:[1,0,0]
	s_movk_i32 s20, 0x2fb7
	v_pk_add_f16 v17, v49, v17
	s_movk_i32 s21, 0x3bf1
	v_pk_mul_f16 v49, v34, s20 op_sel_hi:[1,0]
	v_pk_fma_f16 v50, v38, s21, v49 op_sel:[0,0,1] op_sel_hi:[1,0,0]
	v_pk_fma_f16 v10, v28, s7, v10 op_sel:[0,0,1] op_sel_hi:[1,0,0] neg_lo:[1,0,0] neg_hi:[1,0,0]
	v_pk_add_f16 v17, v50, v17
	v_pk_fma_f16 v45, v32, s16, v45 op_sel:[0,0,1] op_sel_hi:[1,0,0] neg_lo:[1,0,0] neg_hi:[1,0,0]
	v_add_f16_sdwa v50, v7, v10 dst_sel:DWORD dst_unused:UNUSED_PAD src0_sel:DWORD src1_sel:WORD_1
	v_add_f16_sdwa v10, v7, v10 dst_sel:DWORD dst_unused:UNUSED_PAD src0_sel:WORD_1 src1_sel:DWORD
	v_add_f16_sdwa v50, v50, v45 dst_sel:DWORD dst_unused:UNUSED_PAD src0_sel:DWORD src1_sel:WORD_1
	v_add_f16_e32 v10, v10, v45
	v_pk_fma_f16 v45, v35, s9, v46 op_sel:[0,0,1] op_sel_hi:[1,0,0] neg_lo:[1,0,0] neg_hi:[1,0,0]
	v_add_f16_sdwa v46, v50, v45 dst_sel:DWORD dst_unused:UNUSED_PAD src0_sel:DWORD src1_sel:WORD_1
	v_add_f16_e32 v10, v10, v45
	v_pk_fma_f16 v45, v36, s22, v47 op_sel:[0,0,1] op_sel_hi:[1,0,0] neg_lo:[1,0,0] neg_hi:[1,0,0]
	;; [unrolled: 3-line block ×3, first 2 shown]
	v_add_f16_sdwa v46, v45, v46 dst_sel:DWORD dst_unused:UNUSED_PAD src0_sel:WORD_1 src1_sel:DWORD
	v_add_f16_e32 v10, v45, v10
	v_mul_u32_u24_e32 v45, 0x249, v8
	v_pk_fma_f16 v8, v34, s0, v19 op_sel:[0,0,1] op_sel_hi:[1,1,0]
	v_pk_add_f16 v8, v8, v18
	v_pk_fma_f16 v18, v38, s21, v49 op_sel:[0,0,1] op_sel_hi:[1,0,0] neg_lo:[1,0,0] neg_hi:[1,0,0]
	v_add_f16_e32 v19, v18, v10
	v_add_f16_sdwa v10, v18, v46 dst_sel:DWORD dst_unused:UNUSED_PAD src0_sel:WORD_1 src1_sel:DWORD
	v_cmp_gt_u32_e64 s[0:1], 45, v6
	v_lshlrev_b32_e32 v18, 2, v45
	s_and_saveexec_b64 s[4:5], s[0:1]
	s_cbranch_execz .LBB0_14
; %bb.13:
	v_add_f16_sdwa v39, v7, v39 dst_sel:DWORD dst_unused:UNUSED_PAD src0_sel:DWORD src1_sel:WORD_1
	v_add_f16_sdwa v39, v39, v40 dst_sel:DWORD dst_unused:UNUSED_PAD src0_sel:DWORD src1_sel:WORD_1
	;; [unrolled: 1-line block ×4, first 2 shown]
	v_add_f16_sdwa v39, v43, v39 dst_sel:DWORD dst_unused:UNUSED_PAD src0_sel:WORD_1 src1_sel:DWORD
	v_mul_f16_e32 v40, 0xbbf1, v28
	v_lshrrev_b32_e32 v41, 16, v11
	v_add_f16_sdwa v39, v44, v39 dst_sel:DWORD dst_unused:UNUSED_PAD src0_sel:WORD_1 src1_sel:DWORD
	v_fma_f16 v42, v41, s20, v40
	v_mul_f16_e32 v43, 0xb3a8, v32
	v_lshrrev_b32_e32 v44, 16, v29
	v_add_f16_sdwa v42, v7, v42 dst_sel:DWORD dst_unused:UNUSED_PAD src0_sel:WORD_1 src1_sel:DWORD
	v_fma_f16 v45, v44, s8, v43
	v_add_f16_e32 v42, v42, v45
	v_mul_f16_e32 v45, 0x3b7b, v35
	v_lshrrev_b32_e32 v46, 16, v30
	v_fma_f16 v47, v46, s19, v45
	v_add_f16_e32 v42, v42, v47
	v_mul_f16_e32 v47, 0x3770, v36
	v_lshrrev_b32_e32 v48, 16, v31
	;; [unrolled: 4-line block ×5, first 2 shown]
	v_fma_f16 v55, v54, s21, v53
	s_movk_i32 s0, 0x33a8
	v_mul_f16_e32 v56, 0xbbc4, v29
	v_lshrrev_b32_e32 v57, 16, v32
	v_add_f16_e32 v55, v7, v55
	v_fma_f16 v58, v57, s0, v56
	v_add_f16_e32 v55, v55, v58
	v_mul_f16_e32 v58, 0xb5ac, v30
	v_lshrrev_b32_e32 v59, 16, v35
	v_fma_f16 v60, v59, s17, v58
	v_add_f16_e32 v55, v55, v60
	s_mov_b32 s1, 0xb770
	v_mul_f16_e32 v60, 0x3b15, v31
	v_lshrrev_b32_e32 v61, 16, v36
	v_fma_f16 v62, v61, s1, v60
	v_add_f16_e32 v55, v55, v62
	v_mul_f16_e32 v62, 0x388b, v33
	v_lshrrev_b32_e32 v63, 16, v37
	v_fma_f16 v64, v63, s22, v62
	v_add_f16_e32 v55, v64, v55
	s_movk_i32 s23, 0x394e
	v_mul_f16_e32 v64, 0xb9fd, v34
	v_lshrrev_b32_e32 v65, 16, v38
	v_fma_f16 v66, v65, s23, v64
	v_add_f16_e32 v55, v66, v55
	v_mul_f16_e32 v66, 0xba95, v28
	v_fma_f16 v67, v41, s18, v66
	v_mul_f16_e32 v68, 0xbb7b, v32
	v_add_f16_sdwa v67, v7, v67 dst_sel:DWORD dst_unused:UNUSED_PAD src0_sel:WORD_1 src1_sel:DWORD
	v_fma_f16 v69, v44, s19, v68
	v_add_f16_e32 v67, v67, v69
	v_mul_f16_e32 v69, 0xb3a8, v35
	v_fma_f16 v70, v46, s8, v69
	v_add_f16_e32 v67, v67, v70
	v_mul_f16_e32 v70, 0x394e, v36
	;; [unrolled: 3-line block ×5, first 2 shown]
	s_movk_i32 s24, 0x3b7b
	v_fma_f16 v74, v54, s22, v73
	v_mul_f16_e32 v75, 0xb5ac, v29
	v_add_f16_e32 v74, v7, v74
	v_fma_f16 v76, v57, s24, v75
	v_add_f16_e32 v74, v74, v76
	v_mul_f16_e32 v76, 0xbbc4, v30
	v_fma_f16 v77, v59, s0, v76
	v_add_f16_e32 v74, v74, v77
	v_mul_f16_e32 v77, 0xb9fd, v31
	v_fma_f16 v78, v61, s9, v77
	v_add_f16_e32 v74, v74, v78
	s_mov_b32 s25, 0xbbf1
	v_mul_f16_e32 v78, 0x2fb7, v33
	v_fma_f16 v79, v63, s25, v78
	v_add_f16_e32 v74, v79, v74
	v_mul_f16_e32 v79, 0x3b15, v34
	v_fma_f16 v80, v65, s1, v79
	v_mul_f16_e32 v28, 0xb770, v28
	v_add_f16_e32 v74, v80, v74
	v_fma_f16 v80, v41, s15, v28
	v_mul_f16_e32 v32, 0xba95, v32
	v_add_f16_sdwa v80, v7, v80 dst_sel:DWORD dst_unused:UNUSED_PAD src0_sel:WORD_1 src1_sel:DWORD
	v_fma_f16 v81, v44, s18, v32
	v_mul_f16_e32 v35, 0xbbf1, v35
	v_add_f16_e32 v80, v80, v81
	v_fma_f16 v81, v46, s20, v35
	v_mul_f16_e32 v36, 0xbb7b, v36
	v_fma_f16 v40, v41, s20, -v40
	v_add_f16_e32 v80, v80, v81
	v_fma_f16 v81, v48, s19, v36
	v_mul_f16_e32 v37, 0xb94e, v37
	v_add_f16_sdwa v40, v7, v40 dst_sel:DWORD dst_unused:UNUSED_PAD src0_sel:WORD_1 src1_sel:DWORD
	v_fma_f16 v43, v44, s8, -v43
	v_add_f16_e32 v80, v80, v81
	v_fma_f16 v81, v50, s14, v37
	v_mul_f16_e32 v38, 0xb3a8, v38
	v_add_f16_e32 v40, v40, v43
	v_fma_f16 v43, v46, s19, -v45
	v_add_f16_e32 v80, v81, v80
	v_fma_f16 v81, v52, s8, v38
	v_mul_f16_e32 v11, 0x3b15, v11
	v_add_f16_e32 v40, v40, v43
	;; [unrolled: 5-line block ×5, first 2 shown]
	v_fma_f16 v43, v54, s25, v53
	v_add_f16_e32 v81, v81, v82
	v_fma_f16 v82, v61, s24, v31
	v_mul_f16_e32 v33, 0xb9fd, v33
	v_add_f16_e32 v43, v7, v43
	v_fma_f16 v45, v57, s7, v56
	v_add_f16_e32 v81, v81, v82
	v_fma_f16 v82, v63, s23, v33
	v_mul_f16_e32 v34, 0xbbc4, v34
	v_add_f16_e32 v43, v43, v45
	v_fma_f16 v45, v59, s24, v58
	v_add_f16_e32 v81, v82, v81
	v_fma_f16 v82, v65, s0, v34
	;; [unrolled: 2-line block ×3, first 2 shown]
	s_mov_b32 s0, 0xba95
	v_add_f16_e32 v43, v43, v45
	v_fma_f16 v45, v63, s0, v62
	v_add_f16_e32 v43, v45, v43
	v_fma_f16 v45, v65, s9, v64
	v_add_f16_e32 v43, v45, v43
	v_fma_f16 v45, v41, s18, -v66
	v_add_f16_sdwa v45, v7, v45 dst_sel:DWORD dst_unused:UNUSED_PAD src0_sel:WORD_1 src1_sel:DWORD
	v_fma_f16 v47, v44, s19, -v68
	v_add_f16_e32 v45, v45, v47
	v_fma_f16 v47, v46, s8, -v69
	v_add_f16_e32 v45, v45, v47
	;; [unrolled: 2-line block ×5, first 2 shown]
	v_fma_f16 v47, v54, s0, v73
	v_fma_f16 v28, v41, s15, -v28
	v_fma_f16 v11, v54, s1, v11
	v_add_f16_e32 v47, v7, v47
	v_add_f16_sdwa v28, v7, v28 dst_sel:DWORD dst_unused:UNUSED_PAD src0_sel:WORD_1 src1_sel:DWORD
	v_add_f16_e32 v11, v7, v11
	v_pk_add_f16 v7, v7, v20
	v_pk_add_f16 v7, v7, v22
	;; [unrolled: 1-line block ×8, first 2 shown]
	v_add_f16_e32 v81, v82, v81
	v_fma_f16 v49, v57, s17, v75
	v_pk_add_f16 v7, v7, v27
	v_mul_u32_u24_e32 v9, 52, v6
	v_add_f16_e32 v47, v47, v49
	v_fma_f16 v49, v59, s7, v76
	v_fma_f16 v32, v44, s18, -v32
	v_fma_f16 v29, v57, s0, v29
	v_pk_add_f16 v7, v25, v7
	v_add3_u32 v9, 0, v9, v18
	v_pack_b32_f16 v12, v74, v67
	v_pack_b32_f16 v13, v81, v80
	v_add_f16_e32 v47, v47, v49
	v_fma_f16 v49, v61, s23, v77
	v_add_f16_e32 v28, v28, v32
	v_fma_f16 v32, v46, s20, -v35
	v_add_f16_e32 v11, v11, v29
	v_fma_f16 v29, v59, s25, v30
	v_pk_add_f16 v7, v23, v7
	ds_write2_b32 v9, v13, v12 offset0:1 offset1:2
	v_pack_b32_f16 v12, v55, v42
	v_bfi_b32 v13, s6, v39, v8
	s_mov_b32 s0, 0x5040100
	v_add_f16_e32 v47, v47, v49
	v_fma_f16 v49, v63, s21, v78
	v_add_f16_e32 v28, v28, v32
	v_fma_f16 v32, v48, s19, -v36
	v_add_f16_e32 v11, v11, v29
	v_fma_f16 v29, v61, s17, v31
	v_pk_add_f16 v7, v21, v7
	ds_write2_b32 v9, v12, v13 offset0:3 offset1:4
	v_perm_b32 v12, v15, v0, s0
	v_add_f16_e32 v47, v49, v47
	v_fma_f16 v49, v65, s16, v79
	v_add_f16_e32 v28, v28, v32
	v_fma_f16 v32, v50, s14, -v37
	v_add_f16_e32 v11, v11, v29
	v_fma_f16 v29, v63, s9, v33
	ds_write2_b32 v9, v7, v12 offset1:5
	v_perm_b32 v7, v17, v10, s0
	v_alignbit_b32 v12, v19, v17, 16
	s_mov_b32 s1, 0x7060302
	v_add_f16_e32 v47, v49, v47
	v_add_f16_e32 v28, v32, v28
	v_fma_f16 v32, v52, s8, -v38
	v_add_f16_e32 v11, v29, v11
	v_fma_f16 v29, v65, s7, v34
	ds_write2_b32 v9, v7, v12 offset0:6 offset1:7
	v_perm_b32 v7, v0, v16, s1
	v_perm_b32 v12, v16, v8, s0
	v_add_f16_e32 v28, v32, v28
	v_add_f16_e32 v11, v29, v11
	ds_write2_b32 v9, v12, v7 offset0:8 offset1:9
	v_pack_b32_f16 v7, v47, v45
	v_pack_b32_f16 v12, v43, v40
	ds_write2_b32 v9, v12, v7 offset0:10 offset1:11
	v_pack_b32_f16 v7, v11, v28
	ds_write_b32 v9, v7 offset:48
.LBB0_14:
	s_or_b64 exec, exec, s[4:5]
	v_lshlrev_b32_e32 v7, 2, v6
	v_add3_u32 v21, 0, v7, v18
	v_add3_u32 v20, 0, v18, v7
	v_add_u32_e32 v24, 0x400, v21
	s_waitcnt lgkmcnt(0)
	s_barrier
	ds_read_b32 v23, v20
	ds_read2_b32 v[11:12], v21 offset0:117 offset1:234
	ds_read2_b32 v[13:14], v24 offset0:95 offset1:212
	v_cmp_gt_u32_e64 s[0:1], 52, v6
	v_lshrrev_b32_e32 v7, 16, v17
	v_lshrrev_b32_e32 v22, 16, v16
	s_and_saveexec_b64 s[4:5], s[0:1]
	s_cbranch_execz .LBB0_16
; %bb.15:
	ds_read2_b32 v[9:10], v21 offset0:65 offset1:182
	ds_read2_b32 v[7:8], v24 offset0:43 offset1:160
	ds_read_b32 v22, v21 offset:2132
	s_waitcnt lgkmcnt(2)
	v_lshrrev_b32_e32 v15, 16, v9
	v_lshrrev_b32_e32 v17, 16, v10
	s_waitcnt lgkmcnt(1)
	v_lshrrev_b32_e32 v19, 16, v7
	v_lshrrev_b32_e32 v16, 16, v8
	s_waitcnt lgkmcnt(0)
	v_bfi_b32 v0, s6, v9, v22
.LBB0_16:
	s_or_b64 exec, exec, s[4:5]
	s_movk_i32 s15, 0x4f
	v_mul_lo_u16_sdwa v9, v6, s15 dst_sel:DWORD dst_unused:UNUSED_PAD src0_sel:BYTE_0 src1_sel:DWORD
	v_lshrrev_b16_e32 v29, 10, v9
	v_mul_lo_u16_e32 v9, 13, v29
	v_sub_u16_e32 v30, v6, v9
	v_mov_b32_e32 v24, 4
	v_lshlrev_b32_sdwa v9, v24, v30 dst_sel:DWORD dst_unused:UNUSED_PAD src0_sel:DWORD src1_sel:BYTE_0
	global_load_dwordx4 v[25:28], v9, s[12:13]
	s_waitcnt lgkmcnt(1)
	v_lshrrev_b32_e32 v32, 16, v11
	v_lshrrev_b32_e32 v33, 16, v12
	s_waitcnt lgkmcnt(0)
	v_lshrrev_b32_e32 v34, 16, v13
	v_lshrrev_b32_e32 v35, 16, v14
	;; [unrolled: 1-line block ×3, first 2 shown]
	s_movk_i32 s8, 0x3b9c
	s_mov_b32 s14, 0xbb9c
	s_movk_i32 s7, 0x38b4
	s_mov_b32 s9, 0xb8b4
	v_mov_b32_e32 v9, 2
	s_movk_i32 s6, 0x34f2
	s_movk_i32 s16, 0x104
	v_lshlrev_b32_sdwa v30, v9, v30 dst_sel:DWORD dst_unused:UNUSED_PAD src0_sel:DWORD src1_sel:BYTE_0
	s_waitcnt vmcnt(0)
	s_barrier
	v_mul_f16_sdwa v36, v25, v32 dst_sel:DWORD dst_unused:UNUSED_PAD src0_sel:WORD_1 src1_sel:DWORD
	v_mul_f16_sdwa v37, v25, v11 dst_sel:DWORD dst_unused:UNUSED_PAD src0_sel:WORD_1 src1_sel:DWORD
	;; [unrolled: 1-line block ×8, first 2 shown]
	v_fma_f16 v11, v25, v11, -v36
	v_fma_f16 v25, v25, v32, v37
	v_fma_f16 v12, v26, v12, -v38
	v_fma_f16 v26, v26, v33, v39
	;; [unrolled: 2-line block ×4, first 2 shown]
	v_add_f16_e32 v32, v23, v11
	v_add_f16_e32 v33, v12, v13
	v_sub_f16_e32 v36, v11, v12
	v_sub_f16_e32 v37, v14, v13
	v_add_f16_e32 v38, v11, v14
	v_add_f16_e32 v41, v31, v25
	;; [unrolled: 1-line block ×4, first 2 shown]
	v_sub_f16_e32 v34, v25, v28
	v_sub_f16_e32 v35, v26, v27
	;; [unrolled: 1-line block ×8, first 2 shown]
	v_add_f16_e32 v12, v32, v12
	v_fma_f16 v32, v33, -0.5, v23
	v_add_f16_e32 v33, v36, v37
	v_fma_f16 v23, v38, -0.5, v23
	;; [unrolled: 2-line block ×3, first 2 shown]
	v_fma_f16 v31, v46, -0.5, v31
	v_sub_f16_e32 v45, v28, v27
	v_sub_f16_e32 v47, v27, v28
	v_add_f16_e32 v36, v39, v40
	v_add_f16_e32 v12, v12, v13
	v_fma_f16 v13, v34, s8, v32
	v_fma_f16 v32, v34, s14, v32
	;; [unrolled: 1-line block ×4, first 2 shown]
	v_add_f16_e32 v26, v26, v27
	v_fma_f16 v27, v11, s14, v37
	v_fma_f16 v40, v43, s8, v31
	;; [unrolled: 1-line block ×3, first 2 shown]
	v_add_f16_e32 v38, v44, v45
	v_add_f16_e32 v25, v25, v47
	v_fma_f16 v37, v11, s8, v37
	v_add_f16_e32 v12, v12, v14
	v_fma_f16 v13, v35, s7, v13
	v_fma_f16 v14, v35, s9, v32
	;; [unrolled: 1-line block ×7, first 2 shown]
	v_add_f16_e32 v26, v26, v28
	v_fma_f16 v13, v33, s6, v13
	v_fma_f16 v31, v36, s6, v32
	;; [unrolled: 1-line block ×5, first 2 shown]
	v_mad_u32_u24 v25, v29, s16, 0
	v_fma_f16 v28, v43, s7, v37
	v_fma_f16 v23, v36, s6, v23
	v_add3_u32 v25, v25, v30, v18
	v_pack_b32_f16 v12, v12, v26
	v_pack_b32_f16 v13, v13, v27
	v_fma_f16 v14, v33, s6, v14
	v_fma_f16 v28, v38, s6, v28
	ds_write2_b32 v25, v12, v13 offset1:13
	v_pack_b32_f16 v12, v31, v32
	v_pack_b32_f16 v11, v23, v11
	ds_write2_b32 v25, v12, v11 offset0:26 offset1:39
	v_pack_b32_f16 v11, v14, v28
	ds_write_b32 v25, v11 offset:208
	s_and_saveexec_b64 s[4:5], s[0:1]
	s_cbranch_execz .LBB0_18
; %bb.17:
	v_add_u16_e32 v11, 0x41, v6
	v_mul_lo_u16_sdwa v12, v11, s15 dst_sel:DWORD dst_unused:UNUSED_PAD src0_sel:BYTE_0 src1_sel:DWORD
	v_lshrrev_b16_e32 v23, 10, v12
	v_mul_lo_u16_e32 v12, 13, v23
	v_sub_u16_e32 v25, v11, v12
	v_lshlrev_b32_sdwa v11, v24, v25 dst_sel:DWORD dst_unused:UNUSED_PAD src0_sel:DWORD src1_sel:BYTE_0
	global_load_dwordx4 v[11:14], v11, s[12:13]
	v_lshrrev_b32_e32 v24, 16, v0
	v_mad_u32_u24 v23, v23, s16, 0
	v_lshlrev_b32_sdwa v9, v9, v25 dst_sel:DWORD dst_unused:UNUSED_PAD src0_sel:DWORD src1_sel:BYTE_0
	v_add3_u32 v9, v23, v9, v18
	s_waitcnt vmcnt(0)
	v_mul_f16_sdwa v18, v7, v12 dst_sel:DWORD dst_unused:UNUSED_PAD src0_sel:DWORD src1_sel:WORD_1
	v_mul_f16_sdwa v23, v10, v11 dst_sel:DWORD dst_unused:UNUSED_PAD src0_sel:DWORD src1_sel:WORD_1
	;; [unrolled: 1-line block ×8, first 2 shown]
	v_fma_f16 v18, v19, v12, v18
	v_fma_f16 v17, v17, v11, v23
	;; [unrolled: 1-line block ×4, first 2 shown]
	v_fma_f16 v10, v10, v11, -v27
	v_fma_f16 v11, v22, v14, -v28
	;; [unrolled: 1-line block ×4, first 2 shown]
	v_sub_f16_e32 v12, v18, v17
	v_sub_f16_e32 v13, v16, v19
	v_add_f16_e32 v22, v17, v19
	v_sub_f16_e32 v24, v7, v10
	v_sub_f16_e32 v25, v8, v11
	v_add_f16_e32 v26, v10, v11
	v_add_f16_e32 v31, v18, v16
	v_add_f16_e32 v34, v7, v8
	v_sub_f16_e32 v14, v10, v11
	v_sub_f16_e32 v23, v7, v8
	;; [unrolled: 1-line block ×7, first 2 shown]
	v_add_f16_e32 v17, v15, v17
	v_add_f16_e32 v10, v0, v10
	;; [unrolled: 1-line block ×3, first 2 shown]
	v_fma_f16 v13, v22, -0.5, v15
	v_add_f16_e32 v22, v24, v25
	v_fma_f16 v24, v26, -0.5, v0
	v_fma_f16 v15, v31, -0.5, v15
	;; [unrolled: 1-line block ×3, first 2 shown]
	v_sub_f16_e32 v33, v11, v8
	v_add_f16_e32 v25, v29, v30
	v_add_f16_e32 v17, v17, v18
	v_add_f16_e32 v7, v10, v7
	v_fma_f16 v10, v23, s14, v13
	v_fma_f16 v18, v27, s8, v24
	;; [unrolled: 1-line block ×6, first 2 shown]
	v_add_f16_e32 v26, v32, v33
	v_add_f16_e32 v16, v17, v16
	v_add_f16_e32 v7, v7, v8
	v_fma_f16 v8, v14, s8, v15
	v_fma_f16 v0, v28, s14, v0
	;; [unrolled: 1-line block ×8, first 2 shown]
	v_add_f16_e32 v16, v16, v19
	v_add_f16_e32 v7, v7, v11
	v_fma_f16 v8, v23, s7, v8
	v_fma_f16 v0, v27, s9, v0
	;; [unrolled: 1-line block ×10, first 2 shown]
	v_pack_b32_f16 v7, v7, v16
	v_pack_b32_f16 v14, v15, v14
	;; [unrolled: 1-line block ×5, first 2 shown]
	ds_write2_b32 v9, v7, v14 offset1:13
	ds_write2_b32 v9, v12, v10 offset0:26 offset1:39
	ds_write_b32 v9, v0 offset:208
.LBB0_18:
	s_or_b64 exec, exec, s[4:5]
	s_waitcnt lgkmcnt(0)
	s_barrier
	s_and_saveexec_b64 s[0:1], vcc
	s_cbranch_execz .LBB0_20
; %bb.19:
	v_lshlrev_b32_e32 v13, 3, v6
	v_mov_b32_e32 v14, 0
	v_lshlrev_b64 v[6:7], 2, v[13:14]
	v_mov_b32_e32 v0, s13
	v_add_co_u32_e32 v15, vcc, s12, v6
	v_addc_co_u32_e32 v16, vcc, v0, v7, vcc
	global_load_dwordx4 v[6:9], v[15:16], off offset:208
	global_load_dwordx4 v[10:13], v[15:16], off offset:224
	v_mul_lo_u32 v0, s3, v4
	v_mul_lo_u32 v23, s2, v5
	v_mad_u64_u32 v[15:16], s[0:1], s2, v4, 0
	ds_read2_b32 v[4:5], v21 offset0:65 offset1:130
	v_add_u32_e32 v17, 0x600, v21
	v_add_u32_e32 v19, 0x200, v21
	;; [unrolled: 1-line block ×3, first 2 shown]
	ds_read_b32 v24, v20
	ds_read2_b32 v[17:18], v17 offset0:71 offset1:136
	ds_read2_b32 v[19:20], v19 offset0:67 offset1:132
	;; [unrolled: 1-line block ×3, first 2 shown]
	v_add3_u32 v16, v16, v23, v0
	s_movk_i32 s4, 0x3a21
	s_mov_b32 s1, 0xb924
	s_movk_i32 s5, 0x318f
	s_movk_i32 s2, 0x3aee
	;; [unrolled: 1-line block ×3, first 2 shown]
	s_mov_b32 s6, 0xbb84
	s_movk_i32 s0, 0x3be1
	s_waitcnt vmcnt(1)
	v_lshrrev_b32_e32 v23, 16, v7
	s_waitcnt vmcnt(0)
	v_lshrrev_b32_e32 v30, 16, v12
	s_waitcnt lgkmcnt(4)
	v_mul_f16_sdwa v35, v7, v5 dst_sel:DWORD dst_unused:UNUSED_PAD src0_sel:DWORD src1_sel:WORD_1
	s_waitcnt lgkmcnt(2)
	v_mul_f16_sdwa v36, v12, v17 dst_sel:DWORD dst_unused:UNUSED_PAD src0_sel:DWORD src1_sel:WORD_1
	v_lshrrev_b32_e32 v0, 16, v6
	v_lshrrev_b32_e32 v26, 16, v9
	v_mul_f16_sdwa v27, v6, v4 dst_sel:DWORD dst_unused:UNUSED_PAD src0_sel:DWORD src1_sel:WORD_1
	v_lshrrev_b32_e32 v28, 16, v10
	v_lshrrev_b32_e32 v29, 16, v11
	;; [unrolled: 1-line block ×3, first 2 shown]
	v_mul_f16_sdwa v32, v13, v18 dst_sel:DWORD dst_unused:UNUSED_PAD src0_sel:DWORD src1_sel:WORD_1
	s_waitcnt lgkmcnt(0)
	v_mul_f16_sdwa v34, v11, v22 dst_sel:DWORD dst_unused:UNUSED_PAD src0_sel:DWORD src1_sel:WORD_1
	v_mul_f16_sdwa v37, v9, v20 dst_sel:DWORD dst_unused:UNUSED_PAD src0_sel:DWORD src1_sel:WORD_1
	;; [unrolled: 1-line block ×3, first 2 shown]
	v_fma_f16 v35, v23, v5, v35
	v_fma_f16 v36, v30, v17, v36
	v_mul_f16_sdwa v30, v30, v17 dst_sel:DWORD dst_unused:UNUSED_PAD src0_sel:DWORD src1_sel:WORD_1
	v_mul_f16_sdwa v23, v23, v5 dst_sel:DWORD dst_unused:UNUSED_PAD src0_sel:DWORD src1_sel:WORD_1
	v_lshrrev_b32_e32 v25, 16, v8
	v_mul_f16_sdwa v33, v8, v19 dst_sel:DWORD dst_unused:UNUSED_PAD src0_sel:DWORD src1_sel:WORD_1
	v_fma_f16 v27, v0, v4, v27
	v_fma_f16 v32, v31, v18, v32
	v_fma_f16 v34, v29, v22, v34
	v_fma_f16 v37, v26, v20, v37
	v_fma_f16 v38, v28, v21, v38
	v_mul_f16_sdwa v28, v28, v21 dst_sel:DWORD dst_unused:UNUSED_PAD src0_sel:DWORD src1_sel:WORD_1
	v_mul_f16_sdwa v26, v26, v20 dst_sel:DWORD dst_unused:UNUSED_PAD src0_sel:DWORD src1_sel:WORD_1
	;; [unrolled: 1-line block ×5, first 2 shown]
	v_fma_f16 v12, v17, v12, -v30
	v_fma_f16 v5, v7, v5, -v23
	v_fma_f16 v33, v25, v19, v33
	v_mul_f16_sdwa v25, v25, v19 dst_sel:DWORD dst_unused:UNUSED_PAD src0_sel:DWORD src1_sel:WORD_1
	v_sub_f16_e32 v42, v37, v38
	v_fma_f16 v10, v10, v21, -v28
	v_fma_f16 v9, v9, v20, -v26
	;; [unrolled: 1-line block ×5, first 2 shown]
	v_add_f16_e32 v13, v5, v12
	v_sub_f16_e32 v41, v35, v36
	v_fma_f16 v8, v8, v19, -v25
	v_mul_f16_e32 v4, 0x3be1, v42
	v_add_f16_e32 v6, v9, v10
	v_add_f16_e32 v18, v0, v11
	v_sub_f16_e32 v0, v0, v11
	v_fma_f16 v11, v13, s4, v24
	v_sub_f16_e32 v40, v33, v34
	v_add_f16_e32 v17, v8, v7
	v_fma_f16 v4, v41, s1, -v4
	v_fma_f16 v11, v6, s5, v11
	v_sub_f16_e32 v39, v27, v32
	v_sub_f16_e32 v7, v8, v7
	;; [unrolled: 1-line block ×3, first 2 shown]
	v_fma_f16 v4, v40, s2, v4
	v_fma_f16 v11, v17, -0.5, v11
	v_sub_f16_e32 v5, v5, v12
	v_mul_f16_e32 v12, 0x3be1, v8
	v_fma_f16 v4, v39, s3, v4
	v_fma_f16 v11, v18, s6, v11
	v_fma_f16 v12, v5, s1, -v12
	v_add_f16_e32 v11, v4, v11
	v_add_f16_e32 v20, v35, v36
	v_lshrrev_b32_e32 v21, 16, v24
	v_add_f16_e32 v28, v18, v13
	v_fma_f16 v19, v4, -2.0, v11
	v_fma_f16 v4, v7, s2, v12
	v_add_f16_e32 v12, v37, v38
	v_fma_f16 v22, v20, s4, v21
	v_add_f16_e32 v29, v17, v28
	;; [unrolled: 2-line block ×3, first 2 shown]
	v_add_f16_e32 v9, v29, v9
	v_fma_f16 v22, v23, -0.5, v22
	v_add_f16_e32 v25, v27, v32
	v_add_f16_e32 v9, v9, v10
	;; [unrolled: 1-line block ×4, first 2 shown]
	v_fma_f16 v4, v0, s3, v4
	v_fma_f16 v22, v25, s6, v22
	v_fma_f16 v10, v28, -0.5, v10
	v_add_f16_e32 v28, v39, v42
	v_sub_f16_e32 v22, v22, v4
	v_sub_f16_e32 v28, v28, v41
	v_fma_f16 v26, v4, 2.0, v22
	v_add_f16_e32 v4, v25, v20
	v_mul_f16_e32 v29, 0x3aee, v28
	v_fma_f16 v10, v28, s2, v10
	v_add_f16_e32 v27, v23, v4
	v_fma_f16 v28, v29, -2.0, v10
	v_add_f16_e32 v29, v23, v21
	v_add_f16_e32 v4, v4, v12
	v_fma_f16 v4, v4, -0.5, v29
	v_add_f16_e32 v29, v0, v8
	v_sub_f16_e32 v29, v29, v5
	s_mov_b32 s1, 0xbaee
	v_mul_f16_e32 v30, 0x3aee, v29
	v_fma_f16 v29, v29, s1, v4
	v_mul_f16_e32 v4, 0xb924, v42
	v_fma_f16 v31, v6, s4, v24
	v_fma_f16 v4, v39, s0, v4
	v_fma_f16 v31, v18, s5, v31
	v_fma_f16 v4, v40, s1, v4
	v_fma_f16 v31, v17, -0.5, v31
	v_fma_f16 v4, v41, s3, v4
	v_fma_f16 v31, v13, s6, v31
	v_add_f16_e32 v31, v4, v31
	v_fma_f16 v32, v4, -2.0, v31
	v_fma_f16 v4, v12, s4, v21
	v_mul_f16_e32 v33, 0xb924, v8
	v_fma_f16 v4, v25, s5, v4
	v_fma_f16 v33, v0, s0, v33
	v_fma_f16 v4, v23, -0.5, v4
	v_fma_f16 v33, v7, s1, v33
	v_fma_f16 v4, v20, s6, v4
	;; [unrolled: 1-line block ×3, first 2 shown]
	v_sub_f16_e32 v34, v4, v33
	v_fma_f16 v4, v18, s4, v24
	v_fma_f16 v4, v13, s5, v4
	v_fma_f16 v4, v17, -0.5, v4
	v_fma_f16 v4, v6, s6, v4
	v_mul_f16_e32 v6, 0x3be1, v41
	s_movk_i32 s0, 0x3924
	v_fma_f16 v6, v39, s0, v6
	v_fma_f16 v6, v40, s2, v6
	v_fma_f16 v6, v42, s3, v6
	v_add_f16_e32 v13, v6, v4
	v_fma_f16 v4, v25, s4, v21
	v_mul_f16_e32 v5, 0x3be1, v5
	v_fma_f16 v4, v20, s5, v4
	v_fma_f16 v0, v0, s0, v5
	v_fma_f16 v4, v23, -0.5, v4
	v_fma_f16 v0, v7, s2, v0
	v_fma_f16 v17, v6, -2.0, v13
	v_fma_f16 v4, v12, s6, v4
	v_fma_f16 v0, v8, s3, v0
	v_lshlrev_b64 v[5:6], 2, v[15:16]
	v_sub_f16_e32 v7, v4, v0
	v_fma_f16 v8, v0, 2.0, v7
	v_mov_b32_e32 v0, s11
	v_add_co_u32_e32 v5, vcc, s10, v5
	v_addc_co_u32_e32 v6, vcc, v0, v6, vcc
	v_lshlrev_b64 v[0:1], 2, v[1:2]
	v_mov_b32_e32 v4, v14
	v_add_co_u32_e32 v2, vcc, v5, v0
	v_add_f16_e32 v27, v27, v37
	v_addc_co_u32_e32 v5, vcc, v6, v1, vcc
	v_lshlrev_b64 v[0:1], 2, v[3:4]
	v_add_f16_e32 v27, v27, v38
	v_add_f16_e32 v27, v21, v27
	;; [unrolled: 1-line block ×3, first 2 shown]
	v_add_co_u32_e32 v0, vcc, v2, v0
	v_addc_co_u32_e32 v1, vcc, v5, v1, vcc
	v_pack_b32_f16 v2, v9, v27
	global_store_dword v[0:1], v2, off
	v_pack_b32_f16 v2, v13, v7
	global_store_dword v[0:1], v2, off offset:260
	v_pack_b32_f16 v2, v31, v34
	global_store_dword v[0:1], v2, off offset:520
	;; [unrolled: 2-line block ×3, first 2 shown]
	v_pack_b32_f16 v2, v11, v22
	v_fma_f16 v30, v30, 2.0, v29
	global_store_dword v[0:1], v2, off offset:1040
	v_pack_b32_f16 v2, v19, v26
	v_fma_f16 v33, v33, 2.0, v34
	global_store_dword v[0:1], v2, off offset:1300
	v_pack_b32_f16 v2, v28, v30
	global_store_dword v[0:1], v2, off offset:1560
	v_pack_b32_f16 v2, v32, v33
	;; [unrolled: 2-line block ×3, first 2 shown]
	global_store_dword v[0:1], v2, off offset:2080
.LBB0_20:
	s_endpgm
	.section	.rodata,"a",@progbits
	.p2align	6, 0x0
	.amdhsa_kernel fft_rtc_fwd_len585_factors_13_5_9_wgs_195_tpt_65_half_op_CI_CI_unitstride_sbrr_dirReg
		.amdhsa_group_segment_fixed_size 0
		.amdhsa_private_segment_fixed_size 0
		.amdhsa_kernarg_size 104
		.amdhsa_user_sgpr_count 6
		.amdhsa_user_sgpr_private_segment_buffer 1
		.amdhsa_user_sgpr_dispatch_ptr 0
		.amdhsa_user_sgpr_queue_ptr 0
		.amdhsa_user_sgpr_kernarg_segment_ptr 1
		.amdhsa_user_sgpr_dispatch_id 0
		.amdhsa_user_sgpr_flat_scratch_init 0
		.amdhsa_user_sgpr_private_segment_size 0
		.amdhsa_uses_dynamic_stack 0
		.amdhsa_system_sgpr_private_segment_wavefront_offset 0
		.amdhsa_system_sgpr_workgroup_id_x 1
		.amdhsa_system_sgpr_workgroup_id_y 0
		.amdhsa_system_sgpr_workgroup_id_z 0
		.amdhsa_system_sgpr_workgroup_info 0
		.amdhsa_system_vgpr_workitem_id 0
		.amdhsa_next_free_vgpr 83
		.amdhsa_next_free_sgpr 28
		.amdhsa_reserve_vcc 1
		.amdhsa_reserve_flat_scratch 0
		.amdhsa_float_round_mode_32 0
		.amdhsa_float_round_mode_16_64 0
		.amdhsa_float_denorm_mode_32 3
		.amdhsa_float_denorm_mode_16_64 3
		.amdhsa_dx10_clamp 1
		.amdhsa_ieee_mode 1
		.amdhsa_fp16_overflow 0
		.amdhsa_exception_fp_ieee_invalid_op 0
		.amdhsa_exception_fp_denorm_src 0
		.amdhsa_exception_fp_ieee_div_zero 0
		.amdhsa_exception_fp_ieee_overflow 0
		.amdhsa_exception_fp_ieee_underflow 0
		.amdhsa_exception_fp_ieee_inexact 0
		.amdhsa_exception_int_div_zero 0
	.end_amdhsa_kernel
	.text
.Lfunc_end0:
	.size	fft_rtc_fwd_len585_factors_13_5_9_wgs_195_tpt_65_half_op_CI_CI_unitstride_sbrr_dirReg, .Lfunc_end0-fft_rtc_fwd_len585_factors_13_5_9_wgs_195_tpt_65_half_op_CI_CI_unitstride_sbrr_dirReg
                                        ; -- End function
	.section	.AMDGPU.csdata,"",@progbits
; Kernel info:
; codeLenInByte = 7048
; NumSgprs: 32
; NumVgprs: 83
; ScratchSize: 0
; MemoryBound: 0
; FloatMode: 240
; IeeeMode: 1
; LDSByteSize: 0 bytes/workgroup (compile time only)
; SGPRBlocks: 3
; VGPRBlocks: 20
; NumSGPRsForWavesPerEU: 32
; NumVGPRsForWavesPerEU: 83
; Occupancy: 3
; WaveLimiterHint : 1
; COMPUTE_PGM_RSRC2:SCRATCH_EN: 0
; COMPUTE_PGM_RSRC2:USER_SGPR: 6
; COMPUTE_PGM_RSRC2:TRAP_HANDLER: 0
; COMPUTE_PGM_RSRC2:TGID_X_EN: 1
; COMPUTE_PGM_RSRC2:TGID_Y_EN: 0
; COMPUTE_PGM_RSRC2:TGID_Z_EN: 0
; COMPUTE_PGM_RSRC2:TIDIG_COMP_CNT: 0
	.type	__hip_cuid_6d5e50f1b1e9f5cf,@object ; @__hip_cuid_6d5e50f1b1e9f5cf
	.section	.bss,"aw",@nobits
	.globl	__hip_cuid_6d5e50f1b1e9f5cf
__hip_cuid_6d5e50f1b1e9f5cf:
	.byte	0                               ; 0x0
	.size	__hip_cuid_6d5e50f1b1e9f5cf, 1

	.ident	"AMD clang version 19.0.0git (https://github.com/RadeonOpenCompute/llvm-project roc-6.4.0 25133 c7fe45cf4b819c5991fe208aaa96edf142730f1d)"
	.section	".note.GNU-stack","",@progbits
	.addrsig
	.addrsig_sym __hip_cuid_6d5e50f1b1e9f5cf
	.amdgpu_metadata
---
amdhsa.kernels:
  - .args:
      - .actual_access:  read_only
        .address_space:  global
        .offset:         0
        .size:           8
        .value_kind:     global_buffer
      - .offset:         8
        .size:           8
        .value_kind:     by_value
      - .actual_access:  read_only
        .address_space:  global
        .offset:         16
        .size:           8
        .value_kind:     global_buffer
      - .actual_access:  read_only
        .address_space:  global
        .offset:         24
        .size:           8
        .value_kind:     global_buffer
      - .actual_access:  read_only
        .address_space:  global
        .offset:         32
        .size:           8
        .value_kind:     global_buffer
      - .offset:         40
        .size:           8
        .value_kind:     by_value
      - .actual_access:  read_only
        .address_space:  global
        .offset:         48
        .size:           8
        .value_kind:     global_buffer
      - .actual_access:  read_only
        .address_space:  global
        .offset:         56
        .size:           8
        .value_kind:     global_buffer
      - .offset:         64
        .size:           4
        .value_kind:     by_value
      - .actual_access:  read_only
        .address_space:  global
        .offset:         72
        .size:           8
        .value_kind:     global_buffer
      - .actual_access:  read_only
        .address_space:  global
        .offset:         80
        .size:           8
        .value_kind:     global_buffer
      - .actual_access:  read_only
        .address_space:  global
        .offset:         88
        .size:           8
        .value_kind:     global_buffer
      - .actual_access:  write_only
        .address_space:  global
        .offset:         96
        .size:           8
        .value_kind:     global_buffer
    .group_segment_fixed_size: 0
    .kernarg_segment_align: 8
    .kernarg_segment_size: 104
    .language:       OpenCL C
    .language_version:
      - 2
      - 0
    .max_flat_workgroup_size: 195
    .name:           fft_rtc_fwd_len585_factors_13_5_9_wgs_195_tpt_65_half_op_CI_CI_unitstride_sbrr_dirReg
    .private_segment_fixed_size: 0
    .sgpr_count:     32
    .sgpr_spill_count: 0
    .symbol:         fft_rtc_fwd_len585_factors_13_5_9_wgs_195_tpt_65_half_op_CI_CI_unitstride_sbrr_dirReg.kd
    .uniform_work_group_size: 1
    .uses_dynamic_stack: false
    .vgpr_count:     83
    .vgpr_spill_count: 0
    .wavefront_size: 64
amdhsa.target:   amdgcn-amd-amdhsa--gfx906
amdhsa.version:
  - 1
  - 2
...

	.end_amdgpu_metadata
